;; amdgpu-corpus repo=ROCm/rocFFT kind=compiled arch=gfx950 opt=O3
	.text
	.amdgcn_target "amdgcn-amd-amdhsa--gfx950"
	.amdhsa_code_object_version 6
	.protected	fft_rtc_back_len84_factors_7_2_6_wgs_120_tpt_12_halfLds_sp_ip_CI_unitstride_sbrr_R2C_dirReg ; -- Begin function fft_rtc_back_len84_factors_7_2_6_wgs_120_tpt_12_halfLds_sp_ip_CI_unitstride_sbrr_R2C_dirReg
	.globl	fft_rtc_back_len84_factors_7_2_6_wgs_120_tpt_12_halfLds_sp_ip_CI_unitstride_sbrr_R2C_dirReg
	.p2align	8
	.type	fft_rtc_back_len84_factors_7_2_6_wgs_120_tpt_12_halfLds_sp_ip_CI_unitstride_sbrr_R2C_dirReg,@function
fft_rtc_back_len84_factors_7_2_6_wgs_120_tpt_12_halfLds_sp_ip_CI_unitstride_sbrr_R2C_dirReg: ; @fft_rtc_back_len84_factors_7_2_6_wgs_120_tpt_12_halfLds_sp_ip_CI_unitstride_sbrr_R2C_dirReg
; %bb.0:
	s_load_dwordx2 s[8:9], s[0:1], 0x50
	s_load_dwordx4 s[4:7], s[0:1], 0x0
	s_load_dwordx2 s[10:11], s[0:1], 0x18
	v_mul_u32_u24_e32 v1, 0x1556, v0
	v_lshrrev_b32_e32 v2, 16, v1
	v_mad_u64_u32 v[2:3], s[2:3], s2, 10, v[2:3]
	v_mov_b32_e32 v6, 0
	v_mov_b32_e32 v3, v6
	s_waitcnt lgkmcnt(0)
	v_cmp_lt_u64_e64 s[2:3], s[6:7], 2
	s_and_b64 vcc, exec, s[2:3]
	v_mov_b64_e32 v[4:5], 0
	v_mov_b64_e32 v[10:11], v[2:3]
	s_cbranch_vccnz .LBB0_8
; %bb.1:
	s_load_dwordx2 s[2:3], s[0:1], 0x10
	s_add_u32 s12, s10, 8
	s_addc_u32 s13, s11, 0
	s_mov_b64 s[14:15], 1
	v_mov_b64_e32 v[4:5], 0
	s_waitcnt lgkmcnt(0)
	s_add_u32 s16, s2, 8
	s_addc_u32 s17, s3, 0
	v_mov_b64_e32 v[8:9], v[2:3]
.LBB0_2:                                ; =>This Inner Loop Header: Depth=1
	s_load_dwordx2 s[18:19], s[16:17], 0x0
                                        ; implicit-def: $vgpr10_vgpr11
	s_waitcnt lgkmcnt(0)
	v_or_b32_e32 v7, s19, v9
	v_cmp_ne_u64_e32 vcc, 0, v[6:7]
	s_and_saveexec_b64 s[2:3], vcc
	s_xor_b64 s[20:21], exec, s[2:3]
	s_cbranch_execz .LBB0_4
; %bb.3:                                ;   in Loop: Header=BB0_2 Depth=1
	v_cvt_f32_u32_e32 v1, s18
	v_cvt_f32_u32_e32 v3, s19
	s_sub_u32 s2, 0, s18
	s_subb_u32 s3, 0, s19
	v_fmac_f32_e32 v1, 0x4f800000, v3
	v_rcp_f32_e32 v1, v1
	s_nop 0
	v_mul_f32_e32 v1, 0x5f7ffffc, v1
	v_mul_f32_e32 v3, 0x2f800000, v1
	v_trunc_f32_e32 v3, v3
	v_fmac_f32_e32 v1, 0xcf800000, v3
	v_cvt_u32_f32_e32 v3, v3
	v_cvt_u32_f32_e32 v1, v1
	v_mul_lo_u32 v7, s2, v3
	v_mul_hi_u32 v10, s2, v1
	v_mul_lo_u32 v11, s3, v1
	v_add_u32_e32 v7, v10, v7
	v_mul_lo_u32 v14, s2, v1
	v_add_u32_e32 v7, v7, v11
	v_mul_hi_u32 v10, v1, v14
	v_mul_hi_u32 v13, v1, v7
	v_mul_lo_u32 v12, v1, v7
	v_mov_b32_e32 v11, v6
	v_lshl_add_u64 v[10:11], v[10:11], 0, v[12:13]
	v_mul_hi_u32 v13, v3, v14
	v_mul_lo_u32 v14, v3, v14
	v_add_co_u32_e32 v10, vcc, v10, v14
	v_mul_hi_u32 v12, v3, v7
	s_nop 0
	v_addc_co_u32_e32 v10, vcc, v11, v13, vcc
	v_mov_b32_e32 v11, v6
	s_nop 0
	v_addc_co_u32_e32 v13, vcc, 0, v12, vcc
	v_mul_lo_u32 v12, v3, v7
	v_lshl_add_u64 v[10:11], v[10:11], 0, v[12:13]
	v_add_co_u32_e32 v1, vcc, v1, v10
	v_mul_hi_u32 v10, s2, v1
	s_nop 0
	v_addc_co_u32_e32 v3, vcc, v3, v11, vcc
	v_mul_lo_u32 v7, s2, v3
	v_add_u32_e32 v7, v10, v7
	v_mul_lo_u32 v10, s3, v1
	v_add_u32_e32 v7, v7, v10
	v_mul_lo_u32 v12, s2, v1
	v_mul_hi_u32 v15, v3, v12
	v_mul_lo_u32 v16, v3, v12
	v_mul_hi_u32 v11, v1, v7
	;; [unrolled: 2-line block ×3, first 2 shown]
	v_mov_b32_e32 v13, v6
	v_lshl_add_u64 v[10:11], v[12:13], 0, v[10:11]
	v_add_co_u32_e32 v10, vcc, v10, v16
	v_mul_hi_u32 v14, v3, v7
	s_nop 0
	v_addc_co_u32_e32 v10, vcc, v11, v15, vcc
	v_mul_lo_u32 v12, v3, v7
	s_nop 0
	v_addc_co_u32_e32 v13, vcc, 0, v14, vcc
	v_mov_b32_e32 v11, v6
	v_lshl_add_u64 v[10:11], v[10:11], 0, v[12:13]
	v_add_co_u32_e32 v1, vcc, v1, v10
	v_mul_hi_u32 v12, v8, v1
	s_nop 0
	v_addc_co_u32_e32 v3, vcc, v3, v11, vcc
	v_mad_u64_u32 v[10:11], s[2:3], v8, v3, 0
	v_mov_b32_e32 v13, v6
	v_lshl_add_u64 v[10:11], v[12:13], 0, v[10:11]
	v_mad_u64_u32 v[14:15], s[2:3], v9, v1, 0
	v_add_co_u32_e32 v1, vcc, v10, v14
	v_mad_u64_u32 v[12:13], s[2:3], v9, v3, 0
	s_nop 0
	v_addc_co_u32_e32 v10, vcc, v11, v15, vcc
	v_mov_b32_e32 v11, v6
	s_nop 0
	v_addc_co_u32_e32 v13, vcc, 0, v13, vcc
	v_lshl_add_u64 v[10:11], v[10:11], 0, v[12:13]
	v_mul_lo_u32 v1, s19, v10
	v_mul_lo_u32 v3, s18, v11
	v_mad_u64_u32 v[12:13], s[2:3], s18, v10, 0
	v_add3_u32 v1, v13, v3, v1
	v_sub_u32_e32 v3, v9, v1
	v_mov_b32_e32 v7, s19
	v_sub_co_u32_e32 v16, vcc, v8, v12
	v_lshl_add_u64 v[14:15], v[10:11], 0, 1
	s_nop 0
	v_subb_co_u32_e64 v3, s[2:3], v3, v7, vcc
	v_subrev_co_u32_e64 v7, s[2:3], s18, v16
	v_subb_co_u32_e32 v1, vcc, v9, v1, vcc
	s_nop 0
	v_subbrev_co_u32_e64 v3, s[2:3], 0, v3, s[2:3]
	v_cmp_le_u32_e64 s[2:3], s19, v3
	v_cmp_le_u32_e32 vcc, s19, v1
	s_nop 0
	v_cndmask_b32_e64 v12, 0, -1, s[2:3]
	v_cmp_le_u32_e64 s[2:3], s18, v7
	s_nop 1
	v_cndmask_b32_e64 v7, 0, -1, s[2:3]
	v_cmp_eq_u32_e64 s[2:3], s19, v3
	s_nop 1
	v_cndmask_b32_e64 v3, v12, v7, s[2:3]
	v_lshl_add_u64 v[12:13], v[10:11], 0, 2
	v_cmp_ne_u32_e64 s[2:3], 0, v3
	v_cndmask_b32_e64 v7, 0, -1, vcc
	v_cmp_le_u32_e32 vcc, s18, v16
	v_cndmask_b32_e64 v3, v15, v13, s[2:3]
	s_nop 0
	v_cndmask_b32_e64 v13, 0, -1, vcc
	v_cmp_eq_u32_e32 vcc, s19, v1
	s_nop 1
	v_cndmask_b32_e32 v1, v7, v13, vcc
	v_cmp_ne_u32_e32 vcc, 0, v1
	v_cndmask_b32_e64 v1, v14, v12, s[2:3]
	s_nop 0
	v_cndmask_b32_e32 v11, v11, v3, vcc
	v_cndmask_b32_e32 v10, v10, v1, vcc
.LBB0_4:                                ;   in Loop: Header=BB0_2 Depth=1
	s_andn2_saveexec_b64 s[2:3], s[20:21]
	s_cbranch_execz .LBB0_6
; %bb.5:                                ;   in Loop: Header=BB0_2 Depth=1
	v_cvt_f32_u32_e32 v1, s18
	s_sub_i32 s20, 0, s18
	v_mov_b32_e32 v11, v6
	v_rcp_iflag_f32_e32 v1, v1
	s_nop 0
	v_mul_f32_e32 v1, 0x4f7ffffe, v1
	v_cvt_u32_f32_e32 v1, v1
	v_mul_lo_u32 v3, s20, v1
	v_mul_hi_u32 v3, v1, v3
	v_add_u32_e32 v1, v1, v3
	v_mul_hi_u32 v1, v8, v1
	v_mul_lo_u32 v3, v1, s18
	v_sub_u32_e32 v3, v8, v3
	v_add_u32_e32 v7, 1, v1
	v_subrev_u32_e32 v10, s18, v3
	v_cmp_le_u32_e32 vcc, s18, v3
	s_nop 1
	v_cndmask_b32_e32 v3, v3, v10, vcc
	v_cndmask_b32_e32 v1, v1, v7, vcc
	v_add_u32_e32 v7, 1, v1
	v_cmp_le_u32_e32 vcc, s18, v3
	s_nop 1
	v_cndmask_b32_e32 v10, v1, v7, vcc
.LBB0_6:                                ;   in Loop: Header=BB0_2 Depth=1
	s_or_b64 exec, exec, s[2:3]
	v_mad_u64_u32 v[12:13], s[2:3], v10, s18, 0
	s_load_dwordx2 s[2:3], s[12:13], 0x0
	s_add_u32 s14, s14, 1
	v_mul_lo_u32 v1, v11, s18
	v_mul_lo_u32 v3, v10, s19
	s_addc_u32 s15, s15, 0
	v_add3_u32 v1, v13, v3, v1
	v_sub_co_u32_e32 v3, vcc, v8, v12
	s_add_u32 s12, s12, 8
	s_nop 0
	v_subb_co_u32_e32 v1, vcc, v9, v1, vcc
	s_addc_u32 s13, s13, 0
	v_mov_b64_e32 v[8:9], s[6:7]
	s_waitcnt lgkmcnt(0)
	v_mul_lo_u32 v1, s2, v1
	v_mul_lo_u32 v7, s3, v3
	v_mad_u64_u32 v[4:5], s[2:3], s2, v3, v[4:5]
	s_add_u32 s16, s16, 8
	v_cmp_ge_u64_e32 vcc, s[14:15], v[8:9]
	v_add3_u32 v5, v7, v5, v1
	s_addc_u32 s17, s17, 0
	s_cbranch_vccnz .LBB0_8
; %bb.7:                                ;   in Loop: Header=BB0_2 Depth=1
	v_mov_b64_e32 v[8:9], v[10:11]
	s_branch .LBB0_2
.LBB0_8:
	s_lshl_b64 s[2:3], s[6:7], 3
	s_add_u32 s2, s10, s2
	s_addc_u32 s3, s11, s3
	s_load_dwordx2 s[6:7], s[2:3], 0x0
	s_load_dwordx2 s[10:11], s[0:1], 0x20
	s_mov_b32 s2, 0x15555556
	s_waitcnt lgkmcnt(0)
	v_mad_u64_u32 v[4:5], s[0:1], s6, v10, v[4:5]
	v_mul_lo_u32 v1, s6, v11
	v_mul_lo_u32 v3, s7, v10
	s_mov_b32 s0, 0xcccccccd
	v_add3_u32 v5, v3, v5, v1
	v_mul_hi_u32 v1, v2, s0
	v_lshrrev_b32_e32 v1, 3, v1
	v_mul_lo_u32 v1, v1, 10
	v_sub_u32_e32 v1, v2, v1
	v_mul_hi_u32 v2, v0, s2
	v_mul_u32_u24_e32 v2, 12, v2
	v_sub_u32_e32 v16, v0, v2
	v_cmp_gt_u64_e32 vcc, s[10:11], v[10:11]
	v_cmp_le_u64_e64 s[0:1], s[10:11], v[10:11]
	v_add_u32_e32 v22, 12, v16
	v_add_u32_e32 v24, 24, v16
	;; [unrolled: 1-line block ×3, first 2 shown]
	s_and_saveexec_b64 s[2:3], s[0:1]
	s_xor_b64 s[0:1], exec, s[2:3]
; %bb.9:
	v_add_u32_e32 v22, 12, v16
	v_add_u32_e32 v24, 24, v16
	v_add_u32_e32 v20, 36, v16
; %bb.10:
	s_or_saveexec_b64 s[0:1], s[0:1]
	v_mul_u32_u24_e32 v0, 0x55, v1
	v_lshl_add_u64 v[18:19], v[4:5], 3, s[8:9]
	v_lshlrev_b32_e32 v25, 3, v0
	v_lshlrev_b32_e32 v23, 3, v16
	s_xor_b64 exec, exec, s[0:1]
	s_cbranch_execz .LBB0_12
; %bb.11:
	v_mov_b32_e32 v17, 0
	v_lshl_add_u64 v[0:1], v[16:17], 3, v[18:19]
	global_load_dwordx2 v[2:3], v[0:1], off
	global_load_dwordx2 v[4:5], v[0:1], off offset:96
	global_load_dwordx2 v[6:7], v[0:1], off offset:192
	;; [unrolled: 1-line block ×6, first 2 shown]
	v_add3_u32 v0, 0, v25, v23
	s_waitcnt vmcnt(5)
	ds_write2_b64 v0, v[2:3], v[4:5] offset1:12
	s_waitcnt vmcnt(3)
	ds_write2_b64 v0, v[6:7], v[8:9] offset0:24 offset1:36
	s_waitcnt vmcnt(1)
	ds_write2_b64 v0, v[10:11], v[12:13] offset0:48 offset1:60
	s_waitcnt vmcnt(0)
	ds_write_b64 v0, v[14:15] offset:576
.LBB0_12:
	s_or_b64 exec, exec, s[0:1]
	v_add3_u32 v17, 0, v23, v25
	s_waitcnt lgkmcnt(0)
	s_barrier
	ds_read2_b64 v[0:3], v17 offset0:12 offset1:24
	ds_read2_b64 v[4:7], v17 offset0:60 offset1:72
	v_add_u32_e32 v35, 0, v25
	v_add_u32_e32 v34, v35, v23
	ds_read_b64 v[10:11], v34
	s_mov_b32 s8, 0x3d64c772
	s_waitcnt lgkmcnt(1)
	v_pk_add_f32 v[12:13], v[0:1], v[6:7]
	v_pk_add_f32 v[0:1], v[0:1], v[6:7] neg_lo:[0,1] neg_hi:[0,1]
	ds_read2_b64 v[6:9], v17 offset0:36 offset1:48
	v_pk_add_f32 v[14:15], v[2:3], v[4:5]
	v_pk_add_f32 v[2:3], v[2:3], v[4:5] neg_lo:[0,1] neg_hi:[0,1]
	v_pk_add_f32 v[26:27], v[14:15], v[12:13] neg_lo:[0,1] neg_hi:[0,1]
	v_pk_add_f32 v[30:31], v[14:15], v[12:13]
	s_waitcnt lgkmcnt(0)
	v_pk_add_f32 v[4:5], v[6:7], v[8:9]
	v_mov_b32_e32 v33, v13
	v_mov_b32_e32 v32, v4
	;; [unrolled: 1-line block ×6, first 2 shown]
	v_pk_add_f32 v[6:7], v[8:9], v[6:7] neg_lo:[0,1] neg_hi:[0,1]
	v_pk_add_f32 v[32:33], v[32:33], v[36:37] neg_lo:[0,1] neg_hi:[0,1]
	;; [unrolled: 1-line block ×3, first 2 shown]
	v_mov_b32_e32 v14, v7
	v_mov_b32_e32 v15, v0
	;; [unrolled: 1-line block ×4, first 2 shown]
	s_mov_b32 s12, 0xbeae86e6
	v_pk_add_f32 v[8:9], v[6:7], v[2:3]
	v_pk_add_f32 v[14:15], v[14:15], v[36:37] neg_lo:[0,1] neg_hi:[0,1]
	v_mov_b32_e32 v36, v1
	v_mov_b32_e32 v6, v7
	;; [unrolled: 1-line block ×3, first 2 shown]
	s_mov_b32 s9, 0x3f4a47b2
	s_mov_b32 s13, 0x3f08b237
	v_pk_add_f32 v[28:29], v[2:3], v[0:1] neg_lo:[0,1] neg_hi:[0,1]
	v_pk_add_f32 v[2:3], v[36:37], v[6:7] neg_lo:[0,1] neg_hi:[0,1]
	v_pk_add_f32 v[4:5], v[4:5], v[30:31]
	s_mov_b32 s10, s9
	s_mov_b32 s11, s8
	;; [unrolled: 1-line block ×4, first 2 shown]
	v_pk_add_f32 v[0:1], v[8:9], v[0:1]
	v_pk_add_f32 v[6:7], v[10:11], v[4:5]
	s_mov_b32 s6, 0xbf955555
	v_pk_mul_f32 v[8:9], v[32:33], s[8:9]
	v_pk_mul_f32 v[10:11], v[12:13], s[10:11]
	;; [unrolled: 1-line block ×4, first 2 shown]
	s_mov_b32 s0, 0x3f3bfb3b
	s_mov_b32 s2, 0xbf5ff5aa
	;; [unrolled: 1-line block ×3, first 2 shown]
	v_pk_fma_f32 v[36:37], v[4:5], s[6:7], v[6:7] op_sel_hi:[1,0,1]
	v_pk_fma_f32 v[4:5], v[12:13], s[10:11], v[8:9]
	v_mov_b32_e32 v12, v10
	v_mov_b32_e32 v13, v9
	;; [unrolled: 1-line block ×4, first 2 shown]
	v_pk_mul_f32 v[30:31], v[0:1], s[8:9] op_sel_hi:[1,0]
	v_pk_fma_f32 v[12:13], v[26:27], s[0:1], v[12:13] op_sel_hi:[1,0,1] neg_lo:[1,0,1] neg_hi:[1,0,1]
	v_pk_fma_f32 v[2:3], v[2:3], s[12:13], v[14:15]
	v_pk_fma_f32 v[38:39], v[28:29], s[2:3], v[38:39] op_sel_hi:[1,0,1] neg_lo:[1,0,1] neg_hi:[1,0,1]
	v_pk_add_f32 v[40:41], v[4:5], v[36:37]
	v_pk_add_f32 v[4:5], v[12:13], v[36:37]
	v_pk_add_f32 v[2:3], v[30:31], v[2:3] op_sel:[1,0] op_sel_hi:[0,1]
	v_pk_fma_f32 v[12:13], v[0:1], s[8:9], v[38:39] op_sel_hi:[1,0,1]
	v_mad_u32_u24 v21, v16, 48, v17
	v_pk_add_f32 v[30:31], v[4:5], v[12:13] op_sel:[0,1] op_sel_hi:[1,0]
	v_pk_add_f32 v[38:39], v[4:5], v[12:13] op_sel:[0,1] op_sel_hi:[1,0] neg_lo:[0,1] neg_hi:[0,1]
	v_pk_add_f32 v[4:5], v[40:41], v[2:3] neg_lo:[0,1] neg_hi:[0,1]
	v_pk_add_f32 v[12:13], v[40:41], v[2:3]
	v_mov_b32_e32 v3, v5
	v_mov_b32_e32 v2, v12
	s_barrier
	ds_write2_b64 v21, v[6:7], v[2:3] offset1:1
	v_mov_b32_e32 v9, v11
	v_mov_b32_e32 v6, v33
	;; [unrolled: 1-line block ×3, first 2 shown]
	v_pk_fma_f32 v[2:3], v[26:27], s[0:1], v[8:9] op_sel_hi:[1,0,1] neg_lo:[0,0,1] neg_hi:[0,0,1]
	v_pk_fma_f32 v[6:7], v[28:29], s[2:3], v[6:7] op_sel_hi:[1,0,1] neg_lo:[0,0,1] neg_hi:[0,0,1]
	v_pk_add_f32 v[2:3], v[2:3], v[36:37]
	v_pk_fma_f32 v[0:1], v[0:1], s[8:9], v[6:7] op_sel_hi:[1,0,1]
	v_mov_b32_e32 v5, v13
	v_pk_add_f32 v[6:7], v[2:3], v[0:1] op_sel:[0,1] op_sel_hi:[1,0] neg_lo:[0,1] neg_hi:[0,1]
	v_pk_add_f32 v[0:1], v[2:3], v[0:1] op_sel:[0,1] op_sel_hi:[1,0]
	v_mov_b32_e32 v2, v30
	v_mov_b32_e32 v3, v39
	;; [unrolled: 1-line block ×6, first 2 shown]
	ds_write2_b64 v21, v[2:3], v[8:9] offset0:2 offset1:3
	ds_write2_b64 v21, v[0:1], v[38:39] offset0:4 offset1:5
	ds_write_b64 v21, v[4:5] offset:48
	v_lshl_add_u32 v21, v24, 3, v35
	s_waitcnt lgkmcnt(0)
	s_barrier
	ds_read_b64 v[6:7], v34
	ds_read2_b64 v[0:3], v17 offset0:42 offset1:54
	v_lshl_add_u32 v36, v22, 3, v35
	ds_read_b64 v[10:11], v21
	ds_read_b64 v[8:9], v36
	ds_read_b64 v[14:15], v17 offset:528
	v_cmp_gt_u32_e64 s[0:1], 6, v16
                                        ; implicit-def: $vgpr26
                                        ; implicit-def: $vgpr12
	s_and_saveexec_b64 s[2:3], s[0:1]
	s_cbranch_execz .LBB0_14
; %bb.13:
	v_lshlrev_b32_e32 v4, 3, v20
	v_add3_u32 v4, 0, v4, v25
	ds_read_b64 v[12:13], v17 offset:624
	ds_read_b64 v[4:5], v4
	s_waitcnt lgkmcnt(1)
	v_mov_b32_e32 v26, v13
	s_waitcnt lgkmcnt(0)
	v_mov_b32_e32 v13, v5
.LBB0_14:
	s_or_b64 exec, exec, s[2:3]
	v_add_u32_e32 v5, -7, v16
	v_cmp_gt_u32_e64 s[2:3], 7, v16
	v_mov_b32_e32 v31, 0
	v_mov_b32_e32 v40, 3
	v_cndmask_b32_e64 v30, v5, v16, s[2:3]
	v_mov_b32_e32 v5, 37
	v_mul_lo_u16_sdwa v27, v22, v5 dst_sel:DWORD dst_unused:UNUSED_PAD src0_sel:BYTE_0 src1_sel:DWORD
	v_sub_u16_sdwa v28, v22, v27 dst_sel:DWORD dst_unused:UNUSED_PAD src0_sel:DWORD src1_sel:BYTE_1
	v_lshrrev_b16_e32 v28, 1, v28
	v_and_b32_e32 v28, 0x7f, v28
	v_add_u16_sdwa v27, v28, v27 dst_sel:DWORD dst_unused:UNUSED_PAD src0_sel:DWORD src1_sel:BYTE_1
	v_lshrrev_b16_e32 v27, 2, v27
	v_mul_lo_u16_e32 v28, 7, v27
	v_sub_u16_e32 v29, v22, v28
	v_mul_lo_u16_sdwa v28, v24, v5 dst_sel:DWORD dst_unused:UNUSED_PAD src0_sel:BYTE_0 src1_sel:DWORD
	v_lshl_add_u64 v[32:33], v[30:31], 3, s[4:5]
	v_sub_u16_sdwa v31, v24, v28 dst_sel:DWORD dst_unused:UNUSED_PAD src0_sel:DWORD src1_sel:BYTE_1
	v_lshrrev_b16_e32 v31, 1, v31
	v_and_b32_e32 v31, 0x7f, v31
	v_add_u16_sdwa v28, v31, v28 dst_sel:DWORD dst_unused:UNUSED_PAD src0_sel:DWORD src1_sel:BYTE_1
	v_lshrrev_b16_e32 v31, 2, v28
	v_mul_lo_u16_e32 v28, 7, v31
	v_mul_lo_u16_sdwa v5, v20, v5 dst_sel:DWORD dst_unused:UNUSED_PAD src0_sel:BYTE_0 src1_sel:DWORD
	v_sub_u16_e32 v37, v24, v28
	v_sub_u16_sdwa v28, v20, v5 dst_sel:DWORD dst_unused:UNUSED_PAD src0_sel:DWORD src1_sel:BYTE_1
	v_lshrrev_b16_e32 v28, 1, v28
	v_and_b32_e32 v28, 0x7f, v28
	v_add_u16_sdwa v5, v28, v5 dst_sel:DWORD dst_unused:UNUSED_PAD src0_sel:DWORD src1_sel:BYTE_1
	v_lshrrev_b16_e32 v5, 2, v5
	v_mul_lo_u16_e32 v5, 7, v5
	v_sub_u16_e32 v5, v20, v5
	v_lshlrev_b32_sdwa v28, v40, v5 dst_sel:DWORD dst_unused:UNUSED_PAD src0_sel:DWORD src1_sel:BYTE_0
	v_lshlrev_b32_sdwa v37, v40, v37 dst_sel:DWORD dst_unused:UNUSED_PAD src0_sel:DWORD src1_sel:BYTE_0
	global_load_dwordx2 v[38:39], v28, s[4:5]
	v_lshlrev_b32_sdwa v29, v40, v29 dst_sel:DWORD dst_unused:UNUSED_PAD src0_sel:DWORD src1_sel:BYTE_0
	global_load_dwordx2 v[40:41], v37, s[4:5]
	global_load_dwordx2 v[42:43], v29, s[4:5]
	global_load_dwordx2 v[44:45], v[32:33], off
	v_mov_b32_e32 v5, v13
	v_mov_b32_e32 v13, 0x70
	v_cmp_lt_u32_e64 s[2:3], 6, v16
	s_movk_i32 s6, 0x70
	v_lshlrev_b32_e32 v30, 3, v30
	v_cndmask_b32_e64 v13, 0, v13, s[2:3]
	v_add_u32_e32 v13, 0, v13
	v_add3_u32 v50, v13, v30, v25
	v_mad_u32_u24 v13, v27, s6, 0
	v_mad_u32_u24 v27, v31, s6, 0
	v_add3_u32 v37, v27, v37, v25
	v_add3_u32 v29, v13, v29, v25
	s_waitcnt lgkmcnt(0)
	s_barrier
	s_waitcnt vmcnt(2)
	v_pk_mul_f32 v[30:31], v[40:41], v[14:15] op_sel:[0,1]
	v_pk_mul_f32 v[26:27], v[26:27], v[38:39] op_sel_hi:[0,1]
	s_waitcnt vmcnt(1)
	v_pk_mul_f32 v[32:33], v[42:43], v[2:3] op_sel:[0,1]
	s_waitcnt vmcnt(0)
	v_pk_mul_f32 v[46:47], v[44:45], v[0:1] op_sel:[0,1]
	v_pk_fma_f32 v[48:49], v[12:13], v[38:39], v[26:27] op_sel:[0,0,1] op_sel_hi:[1,1,0]
	v_pk_fma_f32 v[12:13], v[12:13], v[38:39], v[26:27] op_sel:[0,0,1] op_sel_hi:[0,1,0] neg_lo:[1,0,0] neg_hi:[1,0,0]
	v_pk_fma_f32 v[26:27], v[40:41], v[14:15], v[30:31] op_sel:[0,0,1] op_sel_hi:[1,1,0]
	v_pk_fma_f32 v[14:15], v[40:41], v[14:15], v[30:31] op_sel:[0,0,1] op_sel_hi:[1,0,0] neg_lo:[1,0,0] neg_hi:[1,0,0]
	;; [unrolled: 2-line block ×4, first 2 shown]
	v_mov_b32_e32 v49, v13
	v_mov_b32_e32 v33, v1
	;; [unrolled: 1-line block ×4, first 2 shown]
	v_pk_add_f32 v[0:1], v[4:5], v[48:49] neg_lo:[0,1] neg_hi:[0,1]
	v_pk_add_f32 v[14:15], v[6:7], v[32:33] neg_lo:[0,1] neg_hi:[0,1]
	;; [unrolled: 1-line block ×4, first 2 shown]
	v_pk_fma_f32 v[26:27], v[4:5], 2.0, v[0:1] op_sel_hi:[1,0,1] neg_lo:[0,0,1] neg_hi:[0,0,1]
	v_pk_fma_f32 v[6:7], v[6:7], 2.0, v[14:15] op_sel_hi:[1,0,1] neg_lo:[0,0,1] neg_hi:[0,0,1]
	;; [unrolled: 1-line block ×4, first 2 shown]
	ds_write2_b64 v50, v[6:7], v[14:15] offset1:7
	ds_write2_b64 v29, v[8:9], v[12:13] offset1:7
	;; [unrolled: 1-line block ×3, first 2 shown]
	s_and_saveexec_b64 s[2:3], s[0:1]
	s_cbranch_execz .LBB0_16
; %bb.15:
	v_add3_u32 v2, 0, v28, v25
	ds_write2_b64 v2, v[26:27], v[0:1] offset0:70 offset1:77
.LBB0_16:
	s_or_b64 exec, exec, s[2:3]
	s_waitcnt lgkmcnt(0)
	s_barrier
	ds_read2_b64 v[12:15], v17 offset0:14 offset1:28
	ds_read2_b64 v[8:11], v17 offset0:42 offset1:56
	ds_read_b64 v[30:31], v34
	ds_read_b64 v[32:33], v17 offset:560
	v_cmp_gt_u32_e64 s[2:3], 2, v16
                                        ; implicit-def: $vgpr28
                                        ; implicit-def: $vgpr6
	s_and_saveexec_b64 s[6:7], s[2:3]
	s_cbranch_execz .LBB0_18
; %bb.17:
	ds_read2_b64 v[0:3], v17 offset0:26 offset1:40
	ds_read2_b64 v[4:7], v17 offset0:54 offset1:68
	ds_read_b64 v[26:27], v36
	ds_read_b64 v[28:29], v17 offset:656
.LBB0_18:
	s_or_b64 exec, exec, s[6:7]
	v_mul_u32_u24_e32 v25, 5, v16
	v_lshlrev_b32_e32 v25, 3, v25
	global_load_dwordx4 v[38:41], v25, s[4:5] offset:56
	global_load_dwordx4 v[42:45], v25, s[4:5] offset:72
	global_load_dwordx2 v[46:47], v25, s[4:5] offset:88
	s_mov_b32 s8, 0.5
	s_mov_b32 s9, 0x3f5db3d7
	s_mov_b32 s12, s9
	;; [unrolled: 1-line block ×4, first 2 shown]
	s_mov_b32 s6, -0.5
	s_mov_b32 s7, s9
	s_waitcnt lgkmcnt(0)
	s_barrier
	s_waitcnt vmcnt(2)
	v_pk_mul_f32 v[48:49], v[38:39], v[12:13] op_sel:[0,1]
	v_pk_mul_f32 v[50:51], v[40:41], v[14:15] op_sel:[0,1]
	s_waitcnt vmcnt(1)
	v_pk_mul_f32 v[52:53], v[42:43], v[8:9] op_sel:[0,1]
	v_pk_mul_f32 v[54:55], v[44:45], v[10:11] op_sel:[0,1]
	s_waitcnt vmcnt(0)
	v_pk_mul_f32 v[56:57], v[46:47], v[32:33] op_sel:[0,1]
	v_pk_fma_f32 v[58:59], v[38:39], v[12:13], v[48:49] op_sel:[0,0,1] op_sel_hi:[1,0,0]
	v_pk_fma_f32 v[12:13], v[38:39], v[12:13], v[48:49] op_sel:[0,0,1] op_sel_hi:[1,0,0] neg_lo:[1,0,0] neg_hi:[1,0,0]
	v_pk_fma_f32 v[38:39], v[40:41], v[14:15], v[50:51] op_sel:[0,0,1] op_sel_hi:[1,1,0]
	v_pk_fma_f32 v[14:15], v[40:41], v[14:15], v[50:51] op_sel:[0,0,1] op_sel_hi:[1,0,0] neg_lo:[1,0,0] neg_hi:[1,0,0]
	;; [unrolled: 2-line block ×5, first 2 shown]
	v_mov_b32_e32 v41, v9
	v_mov_b32_e32 v45, v33
	;; [unrolled: 1-line block ×4, first 2 shown]
	v_pk_add_f32 v[14:15], v[40:41], v[44:45]
	v_mov_b32_e32 v59, v13
	v_mov_b32_e32 v8, v58
	v_pk_add_f32 v[10:11], v[30:31], v[38:39]
	v_pk_add_f32 v[32:33], v[40:41], v[44:45] neg_lo:[0,1] neg_hi:[0,1]
	v_pk_add_f32 v[46:47], v[38:39], v[42:43]
	v_pk_add_f32 v[38:39], v[38:39], v[42:43] neg_lo:[0,1] neg_hi:[0,1]
	v_fmac_f32_e32 v13, -0.5, v15
	v_pk_add_f32 v[40:41], v[58:59], v[40:41]
	v_fmac_f32_e32 v8, -0.5, v14
	v_pk_fma_f32 v[14:15], -0.5, v[46:47], v[30:31] op_sel_hi:[0,1,1]
	v_pk_mul_f32 v[30:31], v[38:39], s[12:13] op_sel_hi:[1,0]
	v_fmamk_f32 v38, v32, 0x3f5db3d7, v13
	v_pk_add_f32 v[10:11], v[10:11], v[42:43]
	v_pk_add_f32 v[40:41], v[40:41], v[44:45]
	v_fmamk_f32 v12, v33, 0xbf5db3d7, v8
	v_fmac_f32_e32 v13, 0xbf5db3d7, v32
	v_pk_add_f32 v[42:43], v[14:15], v[30:31] op_sel:[0,1] op_sel_hi:[1,0] neg_lo:[0,1] neg_hi:[0,1]
	v_pk_add_f32 v[14:15], v[14:15], v[30:31] op_sel:[0,1] op_sel_hi:[1,0]
	v_pk_mul_f32 v[38:39], v[38:39], s[10:11] op_sel_hi:[0,1]
	v_fmac_f32_e32 v8, 0x3f5db3d7, v33
	v_pk_add_f32 v[32:33], v[10:11], v[40:41]
	v_pk_add_f32 v[10:11], v[10:11], v[40:41] neg_lo:[0,1] neg_hi:[0,1]
	v_mov_b32_e32 v30, v42
	v_mov_b32_e32 v31, v15
	v_mov_b32_e32 v40, v13
	v_mov_b32_e32 v15, v43
	v_pk_fma_f32 v[42:43], v[12:13], s[8:9], v[38:39] neg_lo:[0,0,1] neg_hi:[0,0,1]
	v_pk_fma_f32 v[12:13], v[12:13], s[8:9], v[38:39] op_sel_hi:[0,1,1]
	v_pk_mul_f32 v[38:39], v[40:41], s[10:11] op_sel_hi:[0,1]
	v_mov_b32_e32 v43, v13
	v_pk_fma_f32 v[8:9], v[8:9], s[6:7], v[38:39] op_sel_hi:[0,1,1] neg_lo:[0,0,1] neg_hi:[0,0,1]
	v_pk_add_f32 v[12:13], v[30:31], v[42:43]
	v_pk_add_f32 v[38:39], v[14:15], v[8:9]
	v_pk_add_f32 v[30:31], v[30:31], v[42:43] neg_lo:[0,1] neg_hi:[0,1]
	v_pk_add_f32 v[8:9], v[14:15], v[8:9] neg_lo:[0,1] neg_hi:[0,1]
	ds_write2_b64 v17, v[32:33], v[12:13] offset1:14
	ds_write2_b64 v17, v[38:39], v[10:11] offset0:28 offset1:42
	ds_write2_b64 v17, v[30:31], v[8:9] offset0:56 offset1:70
	s_and_saveexec_b64 s[12:13], s[2:3]
	s_cbranch_execz .LBB0_20
; %bb.19:
	v_add_u32_e32 v8, -2, v16
	v_cndmask_b32_e64 v8, v8, v22, s[2:3]
	v_mul_i32_i24_e32 v8, 5, v8
	v_mov_b32_e32 v9, 0
	v_lshl_add_u64 v[30:31], v[8:9], 3, s[4:5]
	global_load_dwordx4 v[8:11], v[30:31], off offset:56
	global_load_dwordx4 v[12:15], v[30:31], off offset:72
	global_load_dwordx2 v[32:33], v[30:31], off offset:88
	v_mov_b32_e32 v30, v3
	v_mov_b32_e32 v38, v7
	;; [unrolled: 1-line block ×5, first 2 shown]
	s_mov_b32 s2, s9
	s_waitcnt vmcnt(2)
	v_pk_mul_f32 v[30:31], v[30:31], v[10:11] op_sel_hi:[0,1]
	s_waitcnt vmcnt(1)
	v_pk_mul_f32 v[38:39], v[38:39], v[14:15] op_sel_hi:[0,1]
	v_pk_mul_f32 v[42:43], v[42:43], v[12:13] op_sel_hi:[0,1]
	s_waitcnt vmcnt(0)
	v_pk_mul_f32 v[44:45], v[44:45], v[32:33] op_sel_hi:[0,1]
	v_pk_mul_f32 v[40:41], v[40:41], v[8:9] op_sel_hi:[0,1]
	v_pk_fma_f32 v[46:47], v[2:3], v[10:11], v[30:31] op_sel:[0,0,1] op_sel_hi:[1,1,0]
	v_pk_fma_f32 v[2:3], v[2:3], v[10:11], v[30:31] op_sel:[0,0,1] op_sel_hi:[0,1,0] neg_lo:[1,0,0] neg_hi:[1,0,0]
	v_pk_fma_f32 v[10:11], v[6:7], v[14:15], v[38:39] op_sel:[0,0,1] op_sel_hi:[1,1,0]
	v_pk_fma_f32 v[6:7], v[6:7], v[14:15], v[38:39] op_sel:[0,0,1] op_sel_hi:[0,1,0] neg_lo:[1,0,0] neg_hi:[1,0,0]
	;; [unrolled: 2-line block ×5, first 2 shown]
	v_mov_b32_e32 v15, v5
	v_mov_b32_e32 v13, v29
	;; [unrolled: 1-line block ×5, first 2 shown]
	v_pk_add_f32 v[2:3], v[14:15], v[12:13]
	v_mov_b32_e32 v0, v30
	v_pk_add_f32 v[4:5], v[14:15], v[12:13] neg_lo:[0,1] neg_hi:[0,1]
	v_pk_add_f32 v[6:7], v[26:27], v[46:47]
	v_pk_add_f32 v[8:9], v[30:31], v[14:15]
	;; [unrolled: 1-line block ×3, first 2 shown]
	v_pk_add_f32 v[28:29], v[46:47], v[10:11] neg_lo:[0,1] neg_hi:[0,1]
	v_fmac_f32_e32 v1, -0.5, v3
	v_fmac_f32_e32 v0, -0.5, v2
	v_pk_add_f32 v[2:3], v[6:7], v[10:11]
	v_pk_add_f32 v[6:7], v[8:9], v[12:13]
	v_pk_fma_f32 v[8:9], -0.5, v[14:15], v[26:27] op_sel_hi:[0,1,1]
	v_pk_mul_f32 v[10:11], v[28:29], s[2:3] op_sel_hi:[1,0]
	v_fmamk_f32 v14, v4, 0xbf5db3d7, v1
	v_fmac_f32_e32 v1, 0x3f5db3d7, v4
	v_pk_add_f32 v[26:27], v[8:9], v[10:11] op_sel:[0,1] op_sel_hi:[1,0] neg_lo:[0,1] neg_hi:[0,1]
	v_pk_add_f32 v[8:9], v[8:9], v[10:11] op_sel:[0,1] op_sel_hi:[1,0]
	v_mov_b32_e32 v10, v1
	v_fmamk_f32 v12, v5, 0x3f5db3d7, v0
	v_fmac_f32_e32 v0, 0xbf5db3d7, v5
	v_pk_mul_f32 v[14:15], v[14:15], s[10:11] op_sel_hi:[0,1]
	v_pk_mul_f32 v[10:11], v[10:11], s[10:11] op_sel_hi:[0,1]
	v_pk_fma_f32 v[12:13], v[12:13], s[6:7], v[14:15] op_sel_hi:[0,1,1] neg_lo:[0,0,1] neg_hi:[0,0,1]
	v_pk_fma_f32 v[14:15], v[0:1], s[8:9], v[10:11] neg_lo:[0,0,1] neg_hi:[0,0,1]
	v_pk_fma_f32 v[0:1], v[0:1], s[8:9], v[10:11] op_sel_hi:[0,1,1]
	v_pk_add_f32 v[4:5], v[2:3], v[6:7]
	v_pk_add_f32 v[2:3], v[2:3], v[6:7] neg_lo:[0,1] neg_hi:[0,1]
	v_mov_b32_e32 v6, v26
	v_mov_b32_e32 v7, v9
	;; [unrolled: 1-line block ×4, first 2 shown]
	v_pk_add_f32 v[10:11], v[8:9], v[12:13]
	v_pk_add_f32 v[0:1], v[6:7], v[14:15]
	v_pk_add_f32 v[8:9], v[8:9], v[12:13] neg_lo:[0,1] neg_hi:[0,1]
	ds_write2_b64 v17, v[10:11], v[2:3] offset0:40 offset1:54
	v_pk_add_f32 v[2:3], v[6:7], v[14:15] neg_lo:[0,1] neg_hi:[0,1]
	ds_write2_b64 v17, v[4:5], v[0:1] offset0:12 offset1:26
	ds_write2_b64 v17, v[2:3], v[8:9] offset0:68 offset1:82
.LBB0_20:
	s_or_b64 exec, exec, s[12:13]
	s_waitcnt lgkmcnt(0)
	s_barrier
	ds_read_b64 v[4:5], v34
	v_sub_u32_e32 v6, v35, v23
	v_cmp_ne_u32_e64 s[2:3], 0, v16
                                        ; implicit-def: $vgpr2_vgpr3
                                        ; implicit-def: $vgpr1
	s_and_saveexec_b64 s[6:7], s[2:3]
	s_xor_b64 s[2:3], exec, s[6:7]
	s_cbranch_execz .LBB0_22
; %bb.21:
	v_mov_b32_e32 v17, 0
	v_lshl_add_u64 v[0:1], v[16:17], 3, s[4:5]
	global_load_dwordx2 v[2:3], v[0:1], off offset:616
	ds_read_b64 v[0:1], v6 offset:672
	v_mov_b32_e32 v9, 0.5
	v_mov_b32_e32 v10, v9
	s_waitcnt lgkmcnt(0)
	v_pk_add_f32 v[12:13], v[0:1], v[4:5]
	v_pk_add_f32 v[0:1], v[4:5], v[0:1] neg_lo:[0,1] neg_hi:[0,1]
	v_mov_b32_e32 v4, v13
	v_mov_b32_e32 v5, v0
	v_pk_mul_f32 v[4:5], v[4:5], 0.5 op_sel_hi:[1,0]
	s_waitcnt vmcnt(0)
	v_mov_b32_e32 v8, v3
	v_mov_b32_e32 v0, v5
	;; [unrolled: 1-line block ×4, first 2 shown]
	v_pk_mul_f32 v[0:1], v[8:9], v[0:1]
	v_pk_mul_f32 v[14:15], v[2:3], v[4:5] op_sel_hi:[0,1]
	v_pk_fma_f32 v[8:9], v[12:13], v[10:11], v[0:1]
	v_pk_fma_f32 v[10:11], v[12:13], v[10:11], v[0:1] neg_lo:[0,0,1] neg_hi:[0,0,1]
	v_add_f32_e32 v0, v14, v8
	v_sub_f32_e32 v1, v9, v15
	ds_write_b32 v34, v0
	v_pk_fma_f32 v[2:3], v[2:3], v[4:5], v[10:11] op_sel_hi:[0,1,1] neg_lo:[1,0,0] neg_hi:[1,0,0]
                                        ; implicit-def: $vgpr4_vgpr5
.LBB0_22:
	s_andn2_saveexec_b64 s[2:3], s[2:3]
	s_cbranch_execz .LBB0_24
; %bb.23:
	ds_read_b32 v2, v35 offset:340
	s_waitcnt lgkmcnt(1)
	v_mov_b32_e32 v0, v5
	v_add_f32_e32 v1, v5, v4
	ds_write_b32 v34, v1
	v_pk_add_f32 v[0:1], v[4:5], v[0:1] neg_lo:[0,1] neg_hi:[0,1]
	s_waitcnt lgkmcnt(1)
	v_xor_b32_e32 v1, 0x80000000, v2
	ds_write_b32 v35, v1 offset:340
	v_mov_b32_e32 v1, 0
	v_mov_b64_e32 v[2:3], v[0:1]
.LBB0_24:
	s_or_b64 exec, exec, s[2:3]
	v_mov_b32_e32 v23, 0
	s_waitcnt lgkmcnt(0)
	v_lshl_add_u64 v[4:5], v[22:23], 3, s[4:5]
	global_load_dwordx2 v[4:5], v[4:5], off offset:616
	v_mov_b32_e32 v25, v23
	v_lshl_add_u64 v[8:9], v[24:25], 3, s[4:5]
	global_load_dwordx2 v[8:9], v[8:9], off offset:616
	ds_write_b32 v34, v1 offset:4
	ds_write_b64 v6, v[2:3] offset:672
	ds_read_b64 v[2:3], v36
	ds_read_b64 v[10:11], v6 offset:576
	v_mov_b32_e32 v1, 0.5
	v_mov_b32_e32 v12, v1
	s_waitcnt lgkmcnt(0)
	v_pk_add_f32 v[14:15], v[2:3], v[10:11]
	v_pk_add_f32 v[2:3], v[2:3], v[10:11] neg_lo:[0,1] neg_hi:[0,1]
	v_mov_b32_e32 v10, v15
	v_mov_b32_e32 v11, v2
	v_pk_mul_f32 v[10:11], v[10:11], 0.5 op_sel_hi:[1,0]
	s_waitcnt vmcnt(1)
	v_mov_b32_e32 v0, v5
	v_mov_b32_e32 v2, v11
	;; [unrolled: 1-line block ×4, first 2 shown]
	v_pk_mul_f32 v[2:3], v[0:1], v[2:3]
	s_waitcnt vmcnt(0)
	v_mov_b32_e32 v0, v9
	v_pk_fma_f32 v[24:25], v[14:15], v[12:13], v[2:3]
	v_pk_fma_f32 v[2:3], v[14:15], v[12:13], v[2:3] neg_lo:[0,0,1] neg_hi:[0,0,1]
	v_pk_fma_f32 v[12:13], v[4:5], v[10:11], v[24:25]
	v_pk_fma_f32 v[14:15], v[4:5], v[10:11], v[24:25] op_sel_hi:[0,1,1] neg_lo:[1,0,0] neg_hi:[1,0,0]
	v_mov_b32_e32 v13, v15
	v_pk_fma_f32 v[2:3], v[4:5], v[10:11], v[2:3] op_sel_hi:[0,1,1] neg_lo:[1,0,0] neg_hi:[1,0,0]
	ds_write_b64 v36, v[12:13]
	ds_write_b64 v6, v[2:3] offset:576
	ds_read_b64 v[2:3], v21
	ds_read_b64 v[4:5], v6 offset:480
	v_mov_b32_e32 v10, v1
	v_mov_b32_e32 v11, v9
	s_waitcnt lgkmcnt(0)
	v_pk_add_f32 v[12:13], v[2:3], v[4:5]
	v_pk_add_f32 v[2:3], v[2:3], v[4:5] neg_lo:[0,1] neg_hi:[0,1]
	v_mov_b32_e32 v4, v13
	v_mov_b32_e32 v5, v2
	v_pk_mul_f32 v[4:5], v[4:5], 0.5 op_sel_hi:[1,0]
	s_nop 0
	v_mov_b32_e32 v2, v5
	v_mov_b32_e32 v13, v4
	v_pk_mul_f32 v[2:3], v[0:1], v[2:3]
	s_nop 0
	v_pk_fma_f32 v[14:15], v[12:13], v[10:11], v[2:3]
	v_pk_fma_f32 v[2:3], v[12:13], v[10:11], v[2:3] neg_lo:[0,0,1] neg_hi:[0,0,1]
	v_pk_fma_f32 v[10:11], v[8:9], v[4:5], v[14:15]
	v_pk_fma_f32 v[12:13], v[8:9], v[4:5], v[14:15] op_sel_hi:[0,1,1] neg_lo:[1,0,0] neg_hi:[1,0,0]
	v_mov_b32_e32 v11, v13
	v_pk_fma_f32 v[2:3], v[8:9], v[4:5], v[2:3] op_sel_hi:[0,1,1] neg_lo:[1,0,0] neg_hi:[1,0,0]
	ds_write_b64 v21, v[10:11]
	ds_write_b64 v6, v[2:3] offset:480
	s_and_saveexec_b64 s[2:3], s[0:1]
	s_cbranch_execz .LBB0_26
; %bb.25:
	v_mov_b32_e32 v21, v23
	v_lshl_add_u64 v[2:3], v[20:21], 3, s[4:5]
	global_load_dwordx2 v[2:3], v[2:3], off offset:616
	v_lshl_add_u32 v7, v20, 3, v35
	ds_read_b64 v[4:5], v7
	ds_read_b64 v[8:9], v6 offset:384
	v_mov_b32_e32 v10, v1
	s_waitcnt lgkmcnt(0)
	v_pk_add_f32 v[12:13], v[4:5], v[8:9]
	v_pk_add_f32 v[4:5], v[4:5], v[8:9] neg_lo:[0,1] neg_hi:[0,1]
	v_mov_b32_e32 v8, v13
	v_mov_b32_e32 v9, v4
	v_pk_mul_f32 v[8:9], v[8:9], 0.5 op_sel_hi:[1,0]
	s_waitcnt vmcnt(0)
	v_mov_b32_e32 v0, v3
	v_mov_b32_e32 v4, v9
	;; [unrolled: 1-line block ×4, first 2 shown]
	v_pk_mul_f32 v[0:1], v[0:1], v[4:5]
	s_nop 0
	v_pk_fma_f32 v[4:5], v[12:13], v[10:11], v[0:1]
	v_pk_fma_f32 v[0:1], v[12:13], v[10:11], v[0:1] neg_lo:[0,0,1] neg_hi:[0,0,1]
	v_pk_fma_f32 v[10:11], v[2:3], v[8:9], v[4:5]
	v_pk_fma_f32 v[4:5], v[2:3], v[8:9], v[4:5] op_sel_hi:[0,1,1] neg_lo:[1,0,0] neg_hi:[1,0,0]
	v_mov_b32_e32 v11, v5
	v_pk_fma_f32 v[0:1], v[2:3], v[8:9], v[0:1] op_sel_hi:[0,1,1] neg_lo:[1,0,0] neg_hi:[1,0,0]
	ds_write_b64 v7, v[10:11]
	ds_write_b64 v6, v[0:1] offset:384
.LBB0_26:
	s_or_b64 exec, exec, s[2:3]
	s_waitcnt lgkmcnt(0)
	s_barrier
	s_and_saveexec_b64 s[0:1], vcc
	s_cbranch_execz .LBB0_29
; %bb.27:
	ds_read2_b64 v[0:3], v34 offset1:12
	ds_read2_b64 v[4:7], v34 offset0:24 offset1:36
	ds_read2_b64 v[8:11], v34 offset0:48 offset1:60
	v_mov_b32_e32 v17, 0
	v_lshl_add_u64 v[12:13], v[16:17], 3, v[18:19]
	v_cmp_eq_u32_e32 vcc, 11, v16
	s_waitcnt lgkmcnt(2)
	global_store_dwordx2 v[12:13], v[0:1], off
	global_store_dwordx2 v[12:13], v[2:3], off offset:96
	ds_read_b64 v[0:1], v34 offset:576
	s_waitcnt lgkmcnt(2)
	global_store_dwordx2 v[12:13], v[4:5], off offset:192
	global_store_dwordx2 v[12:13], v[6:7], off offset:288
	s_waitcnt lgkmcnt(1)
	global_store_dwordx2 v[12:13], v[8:9], off offset:384
	global_store_dwordx2 v[12:13], v[10:11], off offset:480
	s_waitcnt lgkmcnt(0)
	global_store_dwordx2 v[12:13], v[0:1], off offset:576
	s_and_b64 exec, exec, vcc
	s_cbranch_execz .LBB0_29
; %bb.28:
	ds_read_b64 v[0:1], v34 offset:584
	s_waitcnt lgkmcnt(0)
	global_store_dwordx2 v[18:19], v[0:1], off offset:672
.LBB0_29:
	s_endpgm
	.section	.rodata,"a",@progbits
	.p2align	6, 0x0
	.amdhsa_kernel fft_rtc_back_len84_factors_7_2_6_wgs_120_tpt_12_halfLds_sp_ip_CI_unitstride_sbrr_R2C_dirReg
		.amdhsa_group_segment_fixed_size 0
		.amdhsa_private_segment_fixed_size 0
		.amdhsa_kernarg_size 88
		.amdhsa_user_sgpr_count 2
		.amdhsa_user_sgpr_dispatch_ptr 0
		.amdhsa_user_sgpr_queue_ptr 0
		.amdhsa_user_sgpr_kernarg_segment_ptr 1
		.amdhsa_user_sgpr_dispatch_id 0
		.amdhsa_user_sgpr_kernarg_preload_length 0
		.amdhsa_user_sgpr_kernarg_preload_offset 0
		.amdhsa_user_sgpr_private_segment_size 0
		.amdhsa_uses_dynamic_stack 0
		.amdhsa_enable_private_segment 0
		.amdhsa_system_sgpr_workgroup_id_x 1
		.amdhsa_system_sgpr_workgroup_id_y 0
		.amdhsa_system_sgpr_workgroup_id_z 0
		.amdhsa_system_sgpr_workgroup_info 0
		.amdhsa_system_vgpr_workitem_id 0
		.amdhsa_next_free_vgpr 60
		.amdhsa_next_free_sgpr 22
		.amdhsa_accum_offset 60
		.amdhsa_reserve_vcc 1
		.amdhsa_float_round_mode_32 0
		.amdhsa_float_round_mode_16_64 0
		.amdhsa_float_denorm_mode_32 3
		.amdhsa_float_denorm_mode_16_64 3
		.amdhsa_dx10_clamp 1
		.amdhsa_ieee_mode 1
		.amdhsa_fp16_overflow 0
		.amdhsa_tg_split 0
		.amdhsa_exception_fp_ieee_invalid_op 0
		.amdhsa_exception_fp_denorm_src 0
		.amdhsa_exception_fp_ieee_div_zero 0
		.amdhsa_exception_fp_ieee_overflow 0
		.amdhsa_exception_fp_ieee_underflow 0
		.amdhsa_exception_fp_ieee_inexact 0
		.amdhsa_exception_int_div_zero 0
	.end_amdhsa_kernel
	.text
.Lfunc_end0:
	.size	fft_rtc_back_len84_factors_7_2_6_wgs_120_tpt_12_halfLds_sp_ip_CI_unitstride_sbrr_R2C_dirReg, .Lfunc_end0-fft_rtc_back_len84_factors_7_2_6_wgs_120_tpt_12_halfLds_sp_ip_CI_unitstride_sbrr_R2C_dirReg
                                        ; -- End function
	.section	.AMDGPU.csdata,"",@progbits
; Kernel info:
; codeLenInByte = 4828
; NumSgprs: 28
; NumVgprs: 60
; NumAgprs: 0
; TotalNumVgprs: 60
; ScratchSize: 0
; MemoryBound: 0
; FloatMode: 240
; IeeeMode: 1
; LDSByteSize: 0 bytes/workgroup (compile time only)
; SGPRBlocks: 3
; VGPRBlocks: 7
; NumSGPRsForWavesPerEU: 28
; NumVGPRsForWavesPerEU: 60
; AccumOffset: 60
; Occupancy: 8
; WaveLimiterHint : 1
; COMPUTE_PGM_RSRC2:SCRATCH_EN: 0
; COMPUTE_PGM_RSRC2:USER_SGPR: 2
; COMPUTE_PGM_RSRC2:TRAP_HANDLER: 0
; COMPUTE_PGM_RSRC2:TGID_X_EN: 1
; COMPUTE_PGM_RSRC2:TGID_Y_EN: 0
; COMPUTE_PGM_RSRC2:TGID_Z_EN: 0
; COMPUTE_PGM_RSRC2:TIDIG_COMP_CNT: 0
; COMPUTE_PGM_RSRC3_GFX90A:ACCUM_OFFSET: 14
; COMPUTE_PGM_RSRC3_GFX90A:TG_SPLIT: 0
	.text
	.p2alignl 6, 3212836864
	.fill 256, 4, 3212836864
	.type	__hip_cuid_982848f90134424b,@object ; @__hip_cuid_982848f90134424b
	.section	.bss,"aw",@nobits
	.globl	__hip_cuid_982848f90134424b
__hip_cuid_982848f90134424b:
	.byte	0                               ; 0x0
	.size	__hip_cuid_982848f90134424b, 1

	.ident	"AMD clang version 19.0.0git (https://github.com/RadeonOpenCompute/llvm-project roc-6.4.0 25133 c7fe45cf4b819c5991fe208aaa96edf142730f1d)"
	.section	".note.GNU-stack","",@progbits
	.addrsig
	.addrsig_sym __hip_cuid_982848f90134424b
	.amdgpu_metadata
---
amdhsa.kernels:
  - .agpr_count:     0
    .args:
      - .actual_access:  read_only
        .address_space:  global
        .offset:         0
        .size:           8
        .value_kind:     global_buffer
      - .offset:         8
        .size:           8
        .value_kind:     by_value
      - .actual_access:  read_only
        .address_space:  global
        .offset:         16
        .size:           8
        .value_kind:     global_buffer
      - .actual_access:  read_only
        .address_space:  global
        .offset:         24
        .size:           8
        .value_kind:     global_buffer
      - .offset:         32
        .size:           8
        .value_kind:     by_value
      - .actual_access:  read_only
        .address_space:  global
        .offset:         40
        .size:           8
        .value_kind:     global_buffer
      - .actual_access:  read_only
        .address_space:  global
        .offset:         48
        .size:           8
        .value_kind:     global_buffer
      - .offset:         56
        .size:           4
        .value_kind:     by_value
      - .actual_access:  read_only
        .address_space:  global
        .offset:         64
        .size:           8
        .value_kind:     global_buffer
      - .actual_access:  read_only
        .address_space:  global
        .offset:         72
        .size:           8
        .value_kind:     global_buffer
      - .address_space:  global
        .offset:         80
        .size:           8
        .value_kind:     global_buffer
    .group_segment_fixed_size: 0
    .kernarg_segment_align: 8
    .kernarg_segment_size: 88
    .language:       OpenCL C
    .language_version:
      - 2
      - 0
    .max_flat_workgroup_size: 120
    .name:           fft_rtc_back_len84_factors_7_2_6_wgs_120_tpt_12_halfLds_sp_ip_CI_unitstride_sbrr_R2C_dirReg
    .private_segment_fixed_size: 0
    .sgpr_count:     28
    .sgpr_spill_count: 0
    .symbol:         fft_rtc_back_len84_factors_7_2_6_wgs_120_tpt_12_halfLds_sp_ip_CI_unitstride_sbrr_R2C_dirReg.kd
    .uniform_work_group_size: 1
    .uses_dynamic_stack: false
    .vgpr_count:     60
    .vgpr_spill_count: 0
    .wavefront_size: 64
amdhsa.target:   amdgcn-amd-amdhsa--gfx950
amdhsa.version:
  - 1
  - 2
...

	.end_amdgpu_metadata
